;; amdgpu-corpus repo=ROCm/rocFFT kind=compiled arch=gfx1030 opt=O3
	.text
	.amdgcn_target "amdgcn-amd-amdhsa--gfx1030"
	.amdhsa_code_object_version 6
	.protected	fft_rtc_fwd_len972_factors_3_6_3_6_3_wgs_162_tpt_162_halfLds_dp_op_CI_CI_sbrr_dirReg ; -- Begin function fft_rtc_fwd_len972_factors_3_6_3_6_3_wgs_162_tpt_162_halfLds_dp_op_CI_CI_sbrr_dirReg
	.globl	fft_rtc_fwd_len972_factors_3_6_3_6_3_wgs_162_tpt_162_halfLds_dp_op_CI_CI_sbrr_dirReg
	.p2align	8
	.type	fft_rtc_fwd_len972_factors_3_6_3_6_3_wgs_162_tpt_162_halfLds_dp_op_CI_CI_sbrr_dirReg,@function
fft_rtc_fwd_len972_factors_3_6_3_6_3_wgs_162_tpt_162_halfLds_dp_op_CI_CI_sbrr_dirReg: ; @fft_rtc_fwd_len972_factors_3_6_3_6_3_wgs_162_tpt_162_halfLds_dp_op_CI_CI_sbrr_dirReg
; %bb.0:
	s_clause 0x2
	s_load_dwordx4 s[16:19], s[4:5], 0x18
	s_load_dwordx4 s[12:15], s[4:5], 0x0
	;; [unrolled: 1-line block ×3, first 2 shown]
	v_mul_u32_u24_e32 v2, 0x195, v0
	v_mov_b32_e32 v1, 0
	v_mov_b32_e32 v4, 0
	;; [unrolled: 1-line block ×3, first 2 shown]
	s_waitcnt lgkmcnt(0)
	s_load_dwordx2 s[20:21], s[16:17], 0x0
	s_load_dwordx2 s[2:3], s[18:19], 0x0
	v_cmp_lt_u64_e64 s0, s[14:15], 2
	v_add_nc_u32_sdwa v6, s6, v2 dst_sel:DWORD dst_unused:UNUSED_PAD src0_sel:DWORD src1_sel:WORD_1
	v_mov_b32_e32 v7, v1
	s_and_b32 vcc_lo, exec_lo, s0
	s_cbranch_vccnz .LBB0_8
; %bb.1:
	s_load_dwordx2 s[0:1], s[4:5], 0x10
	v_mov_b32_e32 v4, 0
	v_mov_b32_e32 v5, 0
	s_add_u32 s6, s18, 8
	s_addc_u32 s7, s19, 0
	s_add_u32 s22, s16, 8
	s_addc_u32 s23, s17, 0
	v_mov_b32_e32 v25, v5
	v_mov_b32_e32 v24, v4
	s_mov_b64 s[26:27], 1
	s_waitcnt lgkmcnt(0)
	s_add_u32 s24, s0, 8
	s_addc_u32 s25, s1, 0
.LBB0_2:                                ; =>This Inner Loop Header: Depth=1
	s_load_dwordx2 s[28:29], s[24:25], 0x0
                                        ; implicit-def: $vgpr26_vgpr27
	s_mov_b32 s0, exec_lo
	s_waitcnt lgkmcnt(0)
	v_or_b32_e32 v2, s29, v7
	v_cmpx_ne_u64_e32 0, v[1:2]
	s_xor_b32 s1, exec_lo, s0
	s_cbranch_execz .LBB0_4
; %bb.3:                                ;   in Loop: Header=BB0_2 Depth=1
	v_cvt_f32_u32_e32 v2, s28
	v_cvt_f32_u32_e32 v3, s29
	s_sub_u32 s0, 0, s28
	s_subb_u32 s30, 0, s29
	v_fmac_f32_e32 v2, 0x4f800000, v3
	v_rcp_f32_e32 v2, v2
	v_mul_f32_e32 v2, 0x5f7ffffc, v2
	v_mul_f32_e32 v3, 0x2f800000, v2
	v_trunc_f32_e32 v3, v3
	v_fmac_f32_e32 v2, 0xcf800000, v3
	v_cvt_u32_f32_e32 v3, v3
	v_cvt_u32_f32_e32 v2, v2
	v_mul_lo_u32 v8, s0, v3
	v_mul_hi_u32 v9, s0, v2
	v_mul_lo_u32 v10, s30, v2
	v_add_nc_u32_e32 v8, v9, v8
	v_mul_lo_u32 v9, s0, v2
	v_add_nc_u32_e32 v8, v8, v10
	v_mul_hi_u32 v10, v2, v9
	v_mul_lo_u32 v11, v2, v8
	v_mul_hi_u32 v12, v2, v8
	v_mul_hi_u32 v13, v3, v9
	v_mul_lo_u32 v9, v3, v9
	v_mul_hi_u32 v14, v3, v8
	v_mul_lo_u32 v8, v3, v8
	v_add_co_u32 v10, vcc_lo, v10, v11
	v_add_co_ci_u32_e32 v11, vcc_lo, 0, v12, vcc_lo
	v_add_co_u32 v9, vcc_lo, v10, v9
	v_add_co_ci_u32_e32 v9, vcc_lo, v11, v13, vcc_lo
	v_add_co_ci_u32_e32 v10, vcc_lo, 0, v14, vcc_lo
	v_add_co_u32 v8, vcc_lo, v9, v8
	v_add_co_ci_u32_e32 v9, vcc_lo, 0, v10, vcc_lo
	v_add_co_u32 v2, vcc_lo, v2, v8
	v_add_co_ci_u32_e32 v3, vcc_lo, v3, v9, vcc_lo
	v_mul_hi_u32 v8, s0, v2
	v_mul_lo_u32 v10, s30, v2
	v_mul_lo_u32 v9, s0, v3
	v_add_nc_u32_e32 v8, v8, v9
	v_mul_lo_u32 v9, s0, v2
	v_add_nc_u32_e32 v8, v8, v10
	v_mul_hi_u32 v10, v2, v9
	v_mul_lo_u32 v11, v2, v8
	v_mul_hi_u32 v12, v2, v8
	v_mul_hi_u32 v13, v3, v9
	v_mul_lo_u32 v9, v3, v9
	v_mul_hi_u32 v14, v3, v8
	v_mul_lo_u32 v8, v3, v8
	v_add_co_u32 v10, vcc_lo, v10, v11
	v_add_co_ci_u32_e32 v11, vcc_lo, 0, v12, vcc_lo
	v_add_co_u32 v9, vcc_lo, v10, v9
	v_add_co_ci_u32_e32 v9, vcc_lo, v11, v13, vcc_lo
	v_add_co_ci_u32_e32 v10, vcc_lo, 0, v14, vcc_lo
	v_add_co_u32 v8, vcc_lo, v9, v8
	v_add_co_ci_u32_e32 v9, vcc_lo, 0, v10, vcc_lo
	v_add_co_u32 v8, vcc_lo, v2, v8
	v_add_co_ci_u32_e32 v10, vcc_lo, v3, v9, vcc_lo
	v_mul_hi_u32 v12, v6, v8
	v_mad_u64_u32 v[8:9], null, v7, v8, 0
	v_mad_u64_u32 v[2:3], null, v6, v10, 0
	v_mad_u64_u32 v[10:11], null, v7, v10, 0
	v_add_co_u32 v2, vcc_lo, v12, v2
	v_add_co_ci_u32_e32 v3, vcc_lo, 0, v3, vcc_lo
	v_add_co_u32 v2, vcc_lo, v2, v8
	v_add_co_ci_u32_e32 v2, vcc_lo, v3, v9, vcc_lo
	v_add_co_ci_u32_e32 v3, vcc_lo, 0, v11, vcc_lo
	v_add_co_u32 v8, vcc_lo, v2, v10
	v_add_co_ci_u32_e32 v9, vcc_lo, 0, v3, vcc_lo
	v_mul_lo_u32 v10, s29, v8
	v_mad_u64_u32 v[2:3], null, s28, v8, 0
	v_mul_lo_u32 v11, s28, v9
	v_sub_co_u32 v2, vcc_lo, v6, v2
	v_add3_u32 v3, v3, v11, v10
	v_sub_nc_u32_e32 v10, v7, v3
	v_subrev_co_ci_u32_e64 v10, s0, s29, v10, vcc_lo
	v_add_co_u32 v11, s0, v8, 2
	v_add_co_ci_u32_e64 v12, s0, 0, v9, s0
	v_sub_co_u32 v13, s0, v2, s28
	v_sub_co_ci_u32_e32 v3, vcc_lo, v7, v3, vcc_lo
	v_subrev_co_ci_u32_e64 v10, s0, 0, v10, s0
	v_cmp_le_u32_e32 vcc_lo, s28, v13
	v_cmp_eq_u32_e64 s0, s29, v3
	v_cndmask_b32_e64 v13, 0, -1, vcc_lo
	v_cmp_le_u32_e32 vcc_lo, s29, v10
	v_cndmask_b32_e64 v14, 0, -1, vcc_lo
	v_cmp_le_u32_e32 vcc_lo, s28, v2
	;; [unrolled: 2-line block ×3, first 2 shown]
	v_cndmask_b32_e64 v15, 0, -1, vcc_lo
	v_cmp_eq_u32_e32 vcc_lo, s29, v10
	v_cndmask_b32_e64 v2, v15, v2, s0
	v_cndmask_b32_e32 v10, v14, v13, vcc_lo
	v_add_co_u32 v13, vcc_lo, v8, 1
	v_add_co_ci_u32_e32 v14, vcc_lo, 0, v9, vcc_lo
	v_cmp_ne_u32_e32 vcc_lo, 0, v10
	v_cndmask_b32_e32 v3, v14, v12, vcc_lo
	v_cndmask_b32_e32 v10, v13, v11, vcc_lo
	v_cmp_ne_u32_e32 vcc_lo, 0, v2
	v_cndmask_b32_e32 v27, v9, v3, vcc_lo
	v_cndmask_b32_e32 v26, v8, v10, vcc_lo
.LBB0_4:                                ;   in Loop: Header=BB0_2 Depth=1
	s_andn2_saveexec_b32 s0, s1
	s_cbranch_execz .LBB0_6
; %bb.5:                                ;   in Loop: Header=BB0_2 Depth=1
	v_cvt_f32_u32_e32 v2, s28
	s_sub_i32 s1, 0, s28
	v_mov_b32_e32 v27, v1
	v_rcp_iflag_f32_e32 v2, v2
	v_mul_f32_e32 v2, 0x4f7ffffe, v2
	v_cvt_u32_f32_e32 v2, v2
	v_mul_lo_u32 v3, s1, v2
	v_mul_hi_u32 v3, v2, v3
	v_add_nc_u32_e32 v2, v2, v3
	v_mul_hi_u32 v2, v6, v2
	v_mul_lo_u32 v3, v2, s28
	v_add_nc_u32_e32 v8, 1, v2
	v_sub_nc_u32_e32 v3, v6, v3
	v_subrev_nc_u32_e32 v9, s28, v3
	v_cmp_le_u32_e32 vcc_lo, s28, v3
	v_cndmask_b32_e32 v3, v3, v9, vcc_lo
	v_cndmask_b32_e32 v2, v2, v8, vcc_lo
	v_cmp_le_u32_e32 vcc_lo, s28, v3
	v_add_nc_u32_e32 v8, 1, v2
	v_cndmask_b32_e32 v26, v2, v8, vcc_lo
.LBB0_6:                                ;   in Loop: Header=BB0_2 Depth=1
	s_or_b32 exec_lo, exec_lo, s0
	v_mul_lo_u32 v8, v27, s28
	v_mul_lo_u32 v9, v26, s29
	s_load_dwordx2 s[0:1], s[22:23], 0x0
	v_mad_u64_u32 v[2:3], null, v26, s28, 0
	s_load_dwordx2 s[28:29], s[6:7], 0x0
	s_add_u32 s26, s26, 1
	s_addc_u32 s27, s27, 0
	s_add_u32 s6, s6, 8
	s_addc_u32 s7, s7, 0
	s_add_u32 s22, s22, 8
	v_add3_u32 v3, v3, v9, v8
	v_sub_co_u32 v2, vcc_lo, v6, v2
	s_addc_u32 s23, s23, 0
	s_add_u32 s24, s24, 8
	v_sub_co_ci_u32_e32 v3, vcc_lo, v7, v3, vcc_lo
	s_addc_u32 s25, s25, 0
	s_waitcnt lgkmcnt(0)
	v_mul_lo_u32 v6, s0, v3
	v_mul_lo_u32 v7, s1, v2
	v_mad_u64_u32 v[4:5], null, s0, v2, v[4:5]
	v_mul_lo_u32 v3, s28, v3
	v_mul_lo_u32 v8, s29, v2
	v_mad_u64_u32 v[24:25], null, s28, v2, v[24:25]
	v_cmp_ge_u64_e64 s0, s[26:27], s[14:15]
	v_add3_u32 v5, v7, v5, v6
	v_add3_u32 v25, v8, v25, v3
	s_and_b32 vcc_lo, exec_lo, s0
	s_cbranch_vccnz .LBB0_9
; %bb.7:                                ;   in Loop: Header=BB0_2 Depth=1
	v_mov_b32_e32 v6, v26
	v_mov_b32_e32 v7, v27
	s_branch .LBB0_2
.LBB0_8:
	v_mov_b32_e32 v25, v5
	v_mov_b32_e32 v27, v7
	;; [unrolled: 1-line block ×4, first 2 shown]
.LBB0_9:
	s_load_dwordx2 s[0:1], s[4:5], 0x28
	v_mul_hi_u32 v1, 0x1948b10, v0
	s_lshl_b64 s[6:7], s[14:15], 3
                                        ; implicit-def: $vgpr28
                                        ; implicit-def: $vgpr29
	s_add_u32 s4, s18, s6
	s_addc_u32 s5, s19, s7
	s_waitcnt lgkmcnt(0)
	v_cmp_gt_u64_e32 vcc_lo, s[0:1], v[26:27]
	v_cmp_le_u64_e64 s0, s[0:1], v[26:27]
	s_and_saveexec_b32 s1, s0
	s_xor_b32 s0, exec_lo, s1
; %bb.10:
	v_mul_u32_u24_e32 v1, 0xa2, v1
                                        ; implicit-def: $vgpr4_vgpr5
	v_sub_nc_u32_e32 v28, v0, v1
                                        ; implicit-def: $vgpr1
                                        ; implicit-def: $vgpr0
	v_add_nc_u32_e32 v29, 0xa2, v28
; %bb.11:
	s_or_saveexec_b32 s14, s0
                                        ; implicit-def: $vgpr6_vgpr7
                                        ; implicit-def: $vgpr14_vgpr15
                                        ; implicit-def: $vgpr10_vgpr11
                                        ; implicit-def: $vgpr2_vgpr3
                                        ; implicit-def: $vgpr22_vgpr23
                                        ; implicit-def: $vgpr18_vgpr19
	s_xor_b32 exec_lo, exec_lo, s14
	s_cbranch_execz .LBB0_13
; %bb.12:
	s_add_u32 s0, s16, s6
	s_addc_u32 s1, s17, s7
	v_mul_u32_u24_e32 v1, 0xa2, v1
	s_load_dwordx2 s[0:1], s[0:1], 0x0
	v_sub_nc_u32_e32 v28, v0, v1
	v_lshlrev_b64 v[0:1], 4, v[4:5]
	v_add_nc_u32_e32 v15, 0x144, v28
	v_mad_u64_u32 v[2:3], null, s20, v28, 0
	v_add_nc_u32_e32 v17, 0x288, v28
	v_add_nc_u32_e32 v29, 0xa2, v28
	v_mad_u64_u32 v[4:5], null, s20, v15, 0
	v_add_nc_u32_e32 v18, 0x1e6, v28
	v_mad_u64_u32 v[6:7], null, s20, v17, 0
	v_mad_u64_u32 v[10:11], null, s20, v29, 0
	s_waitcnt lgkmcnt(0)
	v_mul_lo_u32 v16, s1, v26
	v_mul_lo_u32 v19, s0, v27
	v_mad_u64_u32 v[8:9], null, s0, v26, 0
	v_mad_u64_u32 v[12:13], null, s21, v28, v[3:4]
	v_add_nc_u32_e32 v20, 0x32a, v28
	v_mad_u64_u32 v[13:14], null, s20, v18, 0
	v_add3_u32 v9, v9, v19, v16
	v_mad_u64_u32 v[15:16], null, s21, v15, v[5:6]
	v_mov_b32_e32 v3, v12
	v_lshlrev_b64 v[8:9], 4, v[8:9]
	v_lshlrev_b64 v[2:3], 4, v[2:3]
	v_mov_b32_e32 v5, v15
	v_mad_u64_u32 v[16:17], null, s21, v17, v[7:8]
	v_add_co_u32 v7, s0, s8, v8
	v_add_co_ci_u32_e64 v8, s0, s9, v9, s0
	v_lshlrev_b64 v[4:5], 4, v[4:5]
	v_add_co_u32 v17, s0, v7, v0
	v_add_co_ci_u32_e64 v19, s0, v8, v1, s0
	v_mad_u64_u32 v[0:1], null, s21, v29, v[11:12]
	v_mad_u64_u32 v[8:9], null, s20, v20, 0
	v_add_co_u32 v1, s0, v17, v2
	v_add_co_ci_u32_e64 v2, s0, v19, v3, s0
	v_mov_b32_e32 v3, v14
	v_mov_b32_e32 v11, v0
	;; [unrolled: 1-line block ×4, first 2 shown]
	v_mad_u64_u32 v[14:15], null, s21, v18, v[3:4]
	v_mad_u64_u32 v[15:16], null, s21, v20, v[0:1]
	v_add_co_u32 v3, s0, v17, v4
	v_add_co_ci_u32_e64 v4, s0, v19, v5, s0
	v_lshlrev_b64 v[5:6], 4, v[6:7]
	v_lshlrev_b64 v[10:11], 4, v[10:11]
	v_mov_b32_e32 v9, v15
	v_lshlrev_b64 v[12:13], 4, v[13:14]
	v_add_co_u32 v5, s0, v17, v5
	v_add_co_ci_u32_e64 v6, s0, v19, v6, s0
	v_add_co_u32 v10, s0, v17, v10
	v_lshlrev_b64 v[7:8], 4, v[8:9]
	v_add_co_ci_u32_e64 v11, s0, v19, v11, s0
	v_add_co_u32 v12, s0, v17, v12
	v_add_co_ci_u32_e64 v13, s0, v19, v13, s0
	v_add_co_u32 v30, s0, v17, v7
	v_add_co_ci_u32_e64 v31, s0, v19, v8, s0
	s_clause 0x5
	global_load_dwordx4 v[16:19], v[1:2], off
	global_load_dwordx4 v[20:23], v[3:4], off
	;; [unrolled: 1-line block ×6, first 2 shown]
.LBB0_13:
	s_or_b32 exec_lo, exec_lo, s14
	s_waitcnt vmcnt(0)
	v_add_f64 v[32:33], v[4:5], v[12:13]
	v_add_f64 v[30:31], v[0:1], v[20:21]
	;; [unrolled: 1-line block ×4, first 2 shown]
	v_and_b32_e32 v62, 0xff, v28
	v_add_f64 v[42:43], v[12:13], v[8:9]
	v_add_f64 v[38:39], v[20:21], v[16:17]
	v_add_f64 v[40:41], v[22:23], -v[2:3]
	v_add_f64 v[22:23], v[22:23], v[18:19]
	v_add_f64 v[20:21], v[20:21], -v[0:1]
	v_add_f64 v[44:45], v[14:15], -v[6:7]
	s_mov_b32 s0, 0xe8584caa
	s_load_dwordx2 s[6:7], s[4:5], 0x0
	s_mov_b32 s1, 0x3febb67a
	s_mov_b32 s5, 0xbfebb67a
	;; [unrolled: 1-line block ×3, first 2 shown]
	v_mov_b32_e32 v65, 3
	v_fma_f64 v[8:9], v[32:33], -0.5, v[8:9]
	v_mul_lo_u16 v32, 0xab, v62
	v_fma_f64 v[16:17], v[30:31], -0.5, v[16:17]
	v_add_f64 v[30:31], v[14:15], v[10:11]
	v_fma_f64 v[18:19], v[34:35], -0.5, v[18:19]
	v_fma_f64 v[10:11], v[36:37], -0.5, v[10:11]
	v_lshrrev_b16 v63, 9, v32
	v_add_f64 v[32:33], v[12:13], -v[4:5]
	v_add_f64 v[34:35], v[0:1], v[38:39]
	v_add_f64 v[36:37], v[4:5], v[42:43]
	;; [unrolled: 1-line block ×3, first 2 shown]
	v_mul_lo_u16 v13, v63, 3
	v_mad_u32_u24 v14, v28, 24, 0
	v_lshlrev_b32_e32 v15, 4, v28
	v_mad_i32_i24 v12, v29, 24, 0
	v_sub_nc_u16 v64, v28, v13
	v_lshlrev_b32_e32 v13, 4, v29
	v_fma_f64 v[42:43], v[44:45], s[4:5], v[8:9]
	v_fma_f64 v[38:39], v[40:41], s[0:1], v[16:17]
	v_add_f64 v[5:6], v[6:7], v[30:31]
	v_fma_f64 v[30:31], v[20:21], s[4:5], v[18:19]
	v_fma_f64 v[16:17], v[40:41], s[4:5], v[16:17]
	;; [unrolled: 1-line block ×6, first 2 shown]
	v_mov_b32_e32 v9, 5
	v_sub_nc_u32_e32 v8, v14, v15
	v_sub_nc_u32_e32 v10, v12, v13
	v_mov_b32_e32 v7, 0x90
	ds_write2_b64 v14, v[34:35], v[38:39] offset1:1
	ds_write_b64 v14, v[16:17] offset:16
	ds_write2_b64 v12, v[36:37], v[40:41] offset1:1
	ds_write_b64 v12, v[42:43] offset:16
	v_mul_u32_u24_sdwa v3, v64, v9 dst_sel:DWORD dst_unused:UNUSED_PAD src0_sel:BYTE_0 src1_sel:DWORD
	v_add_nc_u32_e32 v0, 0x800, v8
	v_add_nc_u32_e32 v4, 0x1400, v8
	s_waitcnt lgkmcnt(0)
	s_barrier
	v_lshlrev_b32_e32 v3, 4, v3
	buffer_gl0_inv
	ds_read_b64 v[58:59], v8
	ds_read_b64 v[60:61], v10
	ds_read2_b64 v[16:19], v0 offset0:68 offset1:230
	ds_read2_b64 v[20:23], v4 offset0:8 offset1:170
	s_waitcnt lgkmcnt(0)
	s_barrier
	buffer_gl0_inv
	ds_write2_b64 v14, v[1:2], v[30:31] offset1:1
	ds_write_b64 v14, v[44:45] offset:16
	ds_write2_b64 v12, v[5:6], v[46:47] offset1:1
	ds_write_b64 v12, v[32:33] offset:16
	s_waitcnt lgkmcnt(0)
	s_barrier
	buffer_gl0_inv
	s_clause 0x4
	global_load_dwordx4 v[30:33], v3, s[12:13] offset:32
	global_load_dwordx4 v[34:37], v3, s[12:13] offset:64
	global_load_dwordx4 v[38:41], v3, s[12:13]
	global_load_dwordx4 v[42:45], v3, s[12:13] offset:16
	global_load_dwordx4 v[46:49], v3, s[12:13] offset:48
	ds_read2_b64 v[50:53], v0 offset0:68 offset1:230
	ds_read2_b64 v[54:57], v4 offset0:8 offset1:170
	v_mul_lo_u16 v3, v62, 57
	v_mul_u32_u24_sdwa v7, v63, v7 dst_sel:DWORD dst_unused:UNUSED_PAD src0_sel:WORD_0 src1_sel:DWORD
	v_lshrrev_b16 v3, 10, v3
	v_mul_lo_u16 v11, v3, 18
	v_sub_nc_u16 v11, v28, v11
	s_waitcnt vmcnt(4) lgkmcnt(1)
	v_mul_f64 v[1:2], v[52:53], v[32:33]
	v_mul_f64 v[5:6], v[18:19], v[32:33]
	s_waitcnt vmcnt(3) lgkmcnt(0)
	v_mul_f64 v[32:33], v[56:57], v[36:37]
	v_fma_f64 v[1:2], v[18:19], v[30:31], -v[1:2]
	v_mul_f64 v[18:19], v[22:23], v[36:37]
	v_fma_f64 v[5:6], v[52:53], v[30:31], v[5:6]
	ds_read_b64 v[30:31], v10
	ds_read_b64 v[52:53], v8
	v_fma_f64 v[22:23], v[22:23], v[34:35], -v[32:33]
	s_waitcnt vmcnt(1)
	v_mul_f64 v[36:37], v[50:51], v[44:45]
	s_waitcnt vmcnt(0) lgkmcnt(0)
	s_barrier
	buffer_gl0_inv
	v_fma_f64 v[18:19], v[56:57], v[34:35], v[18:19]
	v_mul_f64 v[32:33], v[30:31], v[40:41]
	v_mul_f64 v[34:35], v[60:61], v[40:41]
	v_add_f64 v[40:41], v[1:2], v[22:23]
	v_fma_f64 v[36:37], v[16:17], v[42:43], -v[36:37]
	v_mul_f64 v[16:17], v[16:17], v[44:45]
	v_mul_f64 v[44:45], v[20:21], v[48:49]
	v_fma_f64 v[32:33], v[60:61], v[38:39], -v[32:33]
	v_fma_f64 v[30:31], v[30:31], v[38:39], v[34:35]
	v_mul_f64 v[34:35], v[54:55], v[48:49]
	v_add_f64 v[38:39], v[5:6], v[18:19]
	v_add_f64 v[48:49], v[1:2], -v[22:23]
	v_fma_f64 v[16:17], v[50:51], v[42:43], v[16:17]
	v_fma_f64 v[42:43], v[54:55], v[46:47], v[44:45]
	v_fma_f64 v[40:41], v[40:41], -0.5, v[32:33]
	v_add_f64 v[1:2], v[32:33], v[1:2]
	v_fma_f64 v[20:21], v[20:21], v[46:47], -v[34:35]
	v_add_f64 v[34:35], v[5:6], -v[18:19]
	v_fma_f64 v[38:39], v[38:39], -0.5, v[30:31]
	v_add_f64 v[5:6], v[30:31], v[5:6]
	v_add_f64 v[54:55], v[16:17], v[42:43]
	;; [unrolled: 1-line block ×4, first 2 shown]
	v_fma_f64 v[50:51], v[34:35], s[4:5], v[40:41]
	v_fma_f64 v[46:47], v[48:49], s[4:5], v[38:39]
	;; [unrolled: 1-line block ×4, first 2 shown]
	v_add_f64 v[40:41], v[58:59], v[36:37]
	v_add_f64 v[48:49], v[16:17], -v[42:43]
	v_add_f64 v[16:17], v[52:53], v[16:17]
	v_add_f64 v[36:37], v[36:37], -v[20:21]
	v_fma_f64 v[30:31], v[54:55], -0.5, v[52:53]
	v_add_f64 v[5:6], v[5:6], v[18:19]
	v_fma_f64 v[32:33], v[44:45], -0.5, v[58:59]
	v_mul_f64 v[56:57], v[50:51], -0.5
	v_mul_f64 v[44:45], v[46:47], s[0:1]
	v_mul_f64 v[52:53], v[34:35], s[4:5]
	v_mul_f64 v[54:55], v[38:39], -0.5
	v_add_f64 v[20:21], v[40:41], v[20:21]
	v_add_f64 v[16:17], v[16:17], v[42:43]
	v_fma_f64 v[18:19], v[36:37], s[4:5], v[30:31]
	v_fma_f64 v[30:31], v[36:37], s[0:1], v[30:31]
	v_fma_f64 v[22:23], v[48:49], s[0:1], v[32:33]
	v_fma_f64 v[32:33], v[48:49], s[4:5], v[32:33]
	v_fma_f64 v[34:35], v[34:35], 0.5, v[44:45]
	v_fma_f64 v[38:39], v[38:39], s[0:1], v[56:57]
	v_fma_f64 v[36:37], v[46:47], 0.5, v[52:53]
	v_fma_f64 v[40:41], v[50:51], s[4:5], v[54:55]
	v_add_f64 v[42:43], v[20:21], v[1:2]
	v_add_f64 v[1:2], v[20:21], -v[1:2]
	v_lshlrev_b32_sdwa v49, v65, v64 dst_sel:DWORD dst_unused:UNUSED_PAD src0_sel:DWORD src1_sel:BYTE_0
	v_mov_b32_e32 v48, 0xe38f
	v_add3_u32 v7, 0, v7, v49
	v_add_f64 v[20:21], v[22:23], v[34:35]
	v_add_f64 v[44:45], v[32:33], v[38:39]
	v_add_f64 v[22:23], v[22:23], -v[34:35]
	v_add_f64 v[32:33], v[32:33], -v[38:39]
	v_add_f64 v[34:35], v[16:17], v[5:6]
	v_add_f64 v[38:39], v[18:19], v[36:37]
	v_add_f64 v[5:6], v[16:17], -v[5:6]
	v_add_f64 v[46:47], v[30:31], v[40:41]
	v_add_f64 v[36:37], v[18:19], -v[36:37]
	v_add_f64 v[30:31], v[30:31], -v[40:41]
	v_lshlrev_b32_sdwa v41, v9, v11 dst_sel:DWORD dst_unused:UNUSED_PAD src0_sel:DWORD src1_sel:BYTE_0
	v_mul_u32_u24_sdwa v40, v29, v48 dst_sel:DWORD dst_unused:UNUSED_PAD src0_sel:WORD_0 src1_sel:DWORD
	ds_write2_b64 v7, v[42:43], v[20:21] offset1:3
	ds_write2_b64 v7, v[44:45], v[1:2] offset0:6 offset1:9
	ds_write2_b64 v7, v[22:23], v[32:33] offset0:12 offset1:15
	s_waitcnt lgkmcnt(0)
	s_barrier
	buffer_gl0_inv
	ds_read2_b64 v[16:19], v0 offset0:68 offset1:230
	ds_read2_b64 v[20:23], v4 offset0:8 offset1:170
	ds_read_b64 v[1:2], v8
	ds_read_b64 v[54:55], v10
	s_waitcnt lgkmcnt(0)
	s_barrier
	buffer_gl0_inv
	ds_write2_b64 v7, v[34:35], v[38:39] offset1:3
	ds_write2_b64 v7, v[46:47], v[5:6] offset0:6 offset1:9
	ds_write2_b64 v7, v[36:37], v[30:31] offset0:12 offset1:15
	s_waitcnt lgkmcnt(0)
	s_barrier
	buffer_gl0_inv
	global_load_dwordx4 v[30:33], v41, s[12:13] offset:240
	v_lshrrev_b32_e32 v7, 20, v40
	v_lshlrev_b32_sdwa v11, v65, v11 dst_sel:DWORD dst_unused:UNUSED_PAD src0_sel:DWORD src1_sel:BYTE_0
	v_mul_lo_u16 v5, v7, 18
	v_mul_u32_u24_e32 v7, 0x1b0, v7
	v_sub_nc_u16 v58, v29, v5
	v_lshlrev_b32_sdwa v5, v9, v58 dst_sel:DWORD dst_unused:UNUSED_PAD src0_sel:DWORD src1_sel:WORD_0
	s_clause 0x2
	global_load_dwordx4 v[34:37], v5, s[12:13] offset:240
	global_load_dwordx4 v[38:41], v41, s[12:13] offset:256
	;; [unrolled: 1-line block ×3, first 2 shown]
	ds_read2_b64 v[46:49], v0 offset0:68 offset1:230
	ds_read2_b64 v[50:53], v4 offset0:8 offset1:170
	s_waitcnt vmcnt(3) lgkmcnt(1)
	v_mul_f64 v[5:6], v[46:47], v[32:33]
	v_mul_f64 v[32:33], v[16:17], v[32:33]
	s_waitcnt vmcnt(2)
	v_mul_f64 v[56:57], v[48:49], v[36:37]
	v_fma_f64 v[5:6], v[16:17], v[30:31], -v[5:6]
	v_fma_f64 v[16:17], v[46:47], v[30:31], v[32:33]
	s_waitcnt vmcnt(1) lgkmcnt(0)
	v_mul_f64 v[30:31], v[50:51], v[40:41]
	s_waitcnt vmcnt(0)
	v_mul_f64 v[32:33], v[52:53], v[44:45]
	v_fma_f64 v[46:47], v[18:19], v[34:35], -v[56:57]
	v_mul_f64 v[18:19], v[18:19], v[36:37]
	v_mul_f64 v[36:37], v[20:21], v[40:41]
	v_fma_f64 v[20:21], v[20:21], v[38:39], -v[30:31]
	v_fma_f64 v[30:31], v[22:23], v[42:43], -v[32:33]
	v_mul_f64 v[22:23], v[22:23], v[44:45]
	v_fma_f64 v[18:19], v[48:49], v[34:35], v[18:19]
	v_fma_f64 v[32:33], v[50:51], v[38:39], v[36:37]
	ds_read_b64 v[38:39], v8
	v_add_f64 v[48:49], v[1:2], v[5:6]
	v_add_f64 v[34:35], v[5:6], v[20:21]
	;; [unrolled: 1-line block ×3, first 2 shown]
	v_fma_f64 v[22:23], v[52:53], v[42:43], v[22:23]
	ds_read_b64 v[42:43], v10
	v_add_f64 v[5:6], v[5:6], -v[20:21]
	v_add_f64 v[52:53], v[54:55], v[46:47]
	s_waitcnt lgkmcnt(0)
	s_barrier
	buffer_gl0_inv
	v_add_f64 v[40:41], v[16:17], v[32:33]
	v_add_f64 v[50:51], v[16:17], -v[32:33]
	v_add_f64 v[16:17], v[38:39], v[16:17]
	v_fma_f64 v[1:2], v[34:35], -0.5, v[1:2]
	v_fma_f64 v[36:37], v[36:37], -0.5, v[54:55]
	v_add_f64 v[44:45], v[18:19], v[22:23]
	v_add_f64 v[34:35], v[18:19], -v[22:23]
	v_add_f64 v[18:19], v[42:43], v[18:19]
	v_mul_lo_u16 v54, v62, 19
	v_add_f64 v[20:21], v[48:49], v[20:21]
	v_mov_b32_e32 v55, 0x1b0
	v_lshrrev_b16 v62, 10, v54
	v_mul_u32_u24_sdwa v3, v3, v55 dst_sel:DWORD dst_unused:UNUSED_PAD src0_sel:WORD_0 src1_sel:DWORD
	v_mul_lo_u16 v54, v62, 54
	v_add3_u32 v3, 0, v3, v11
	v_fma_f64 v[38:39], v[40:41], -0.5, v[38:39]
	v_add_f64 v[40:41], v[46:47], -v[30:31]
	v_add_f64 v[32:33], v[16:17], v[32:33]
	v_add_f64 v[30:31], v[52:53], v[30:31]
	v_sub_nc_u16 v63, v28, v54
	v_fma_f64 v[42:43], v[44:45], -0.5, v[42:43]
	v_fma_f64 v[46:47], v[34:35], s[0:1], v[36:37]
	v_fma_f64 v[34:35], v[34:35], s[4:5], v[36:37]
	v_lshlrev_b32_sdwa v36, v65, v58 dst_sel:DWORD dst_unused:UNUSED_PAD src0_sel:DWORD src1_sel:WORD_0
	v_fma_f64 v[44:45], v[50:51], s[0:1], v[1:2]
	v_fma_f64 v[1:2], v[50:51], s[4:5], v[1:2]
	v_mul_u32_u24_sdwa v9, v63, v9 dst_sel:DWORD dst_unused:UNUSED_PAD src0_sel:BYTE_0 src1_sel:DWORD
	v_add3_u32 v7, 0, v7, v36
	v_add_f64 v[36:37], v[18:19], v[22:23]
	ds_write2_b64 v3, v[20:21], v[44:45] offset1:18
	ds_write_b64 v3, v[1:2] offset:288
	ds_write2_b64 v7, v[30:31], v[46:47] offset1:18
	ds_write_b64 v7, v[34:35] offset:288
	v_fma_f64 v[48:49], v[5:6], s[4:5], v[38:39]
	v_fma_f64 v[5:6], v[5:6], s[0:1], v[38:39]
	v_fma_f64 v[38:39], v[40:41], s[4:5], v[42:43]
	v_fma_f64 v[40:41], v[40:41], s[0:1], v[42:43]
	v_lshlrev_b32_e32 v9, 4, v9
	s_waitcnt lgkmcnt(0)
	s_barrier
	buffer_gl0_inv
	ds_read_b64 v[1:2], v8
	ds_read_b64 v[58:59], v10
	ds_read2_b64 v[16:19], v0 offset0:68 offset1:230
	ds_read2_b64 v[20:23], v4 offset0:8 offset1:170
	s_waitcnt lgkmcnt(0)
	s_barrier
	buffer_gl0_inv
	ds_write2_b64 v3, v[32:33], v[48:49] offset1:18
	ds_write_b64 v3, v[5:6] offset:288
	ds_write2_b64 v7, v[36:37], v[38:39] offset1:18
	ds_write_b64 v7, v[40:41] offset:288
	s_waitcnt lgkmcnt(0)
	s_barrier
	buffer_gl0_inv
	s_clause 0x4
	global_load_dwordx4 v[30:33], v9, s[12:13] offset:848
	global_load_dwordx4 v[34:37], v9, s[12:13] offset:880
	;; [unrolled: 1-line block ×5, first 2 shown]
	ds_read2_b64 v[50:53], v0 offset0:68 offset1:230
	ds_read2_b64 v[54:57], v4 offset0:8 offset1:170
	v_mov_b32_e32 v3, 0xa20
	v_lshlrev_b32_sdwa v7, v65, v63 dst_sel:DWORD dst_unused:UNUSED_PAD src0_sel:DWORD src1_sel:BYTE_0
	v_mul_u32_u24_sdwa v3, v62, v3 dst_sel:DWORD dst_unused:UNUSED_PAD src0_sel:WORD_0 src1_sel:DWORD
	s_waitcnt vmcnt(4) lgkmcnt(1)
	v_mul_f64 v[5:6], v[52:53], v[32:33]
	v_mul_f64 v[32:33], v[18:19], v[32:33]
	s_waitcnt vmcnt(3) lgkmcnt(0)
	v_mul_f64 v[60:61], v[56:57], v[36:37]
	v_fma_f64 v[5:6], v[18:19], v[30:31], -v[5:6]
	v_fma_f64 v[18:19], v[52:53], v[30:31], v[32:33]
	v_mul_f64 v[30:31], v[22:23], v[36:37]
	ds_read_b64 v[32:33], v10
	v_fma_f64 v[22:23], v[22:23], v[34:35], -v[60:61]
	s_waitcnt vmcnt(2)
	v_mul_f64 v[36:37], v[58:59], v[40:41]
	v_fma_f64 v[30:31], v[56:57], v[34:35], v[30:31]
	s_waitcnt lgkmcnt(0)
	v_mul_f64 v[34:35], v[32:33], v[40:41]
	s_waitcnt vmcnt(1)
	v_mul_f64 v[40:41], v[50:51], v[44:45]
	v_fma_f64 v[32:33], v[32:33], v[38:39], v[36:37]
	s_waitcnt vmcnt(0)
	v_mul_f64 v[36:37], v[54:55], v[48:49]
	v_add_f64 v[52:53], v[5:6], v[22:23]
	v_fma_f64 v[34:35], v[58:59], v[38:39], -v[34:35]
	v_add_f64 v[38:39], v[18:19], v[30:31]
	v_fma_f64 v[40:41], v[16:17], v[42:43], -v[40:41]
	v_mul_f64 v[16:17], v[16:17], v[44:45]
	v_mul_f64 v[44:45], v[20:21], v[48:49]
	v_fma_f64 v[20:21], v[20:21], v[46:47], -v[36:37]
	v_add_f64 v[48:49], v[5:6], -v[22:23]
	v_add_f64 v[36:37], v[18:19], -v[30:31]
	v_add_f64 v[18:19], v[32:33], v[18:19]
	v_fma_f64 v[52:53], v[52:53], -0.5, v[34:35]
	v_fma_f64 v[38:39], v[38:39], -0.5, v[32:33]
	v_add_f64 v[56:57], v[1:2], v[40:41]
	v_fma_f64 v[16:17], v[50:51], v[42:43], v[16:17]
	v_fma_f64 v[42:43], v[54:55], v[46:47], v[44:45]
	v_add_f64 v[44:45], v[40:41], v[20:21]
	v_add_f64 v[5:6], v[34:35], v[5:6]
	ds_read_b64 v[54:55], v8
	v_add_f64 v[40:41], v[40:41], -v[20:21]
	v_add_f64 v[18:19], v[18:19], v[30:31]
	s_waitcnt lgkmcnt(0)
	s_barrier
	buffer_gl0_inv
	v_fma_f64 v[50:51], v[36:37], s[4:5], v[52:53]
	v_fma_f64 v[46:47], v[48:49], s[4:5], v[38:39]
	;; [unrolled: 1-line block ×4, first 2 shown]
	v_add_f64 v[58:59], v[16:17], -v[42:43]
	v_add_f64 v[60:61], v[16:17], v[42:43]
	v_fma_f64 v[1:2], v[44:45], -0.5, v[1:2]
	v_add_f64 v[16:17], v[54:55], v[16:17]
	v_add_f64 v[20:21], v[56:57], v[20:21]
	;; [unrolled: 1-line block ×3, first 2 shown]
	v_mul_f64 v[44:45], v[50:51], -0.5
	v_mul_f64 v[38:39], v[46:47], s[0:1]
	v_mul_f64 v[48:49], v[34:35], s[4:5]
	v_mul_f64 v[52:53], v[36:37], -0.5
	v_fma_f64 v[32:33], v[60:61], -0.5, v[54:55]
	v_fma_f64 v[22:23], v[58:59], s[0:1], v[1:2]
	v_fma_f64 v[1:2], v[58:59], s[4:5], v[1:2]
	v_add_f64 v[16:17], v[16:17], v[42:43]
	v_fma_f64 v[36:37], v[36:37], s[0:1], v[44:45]
	v_fma_f64 v[34:35], v[34:35], 0.5, v[38:39]
	v_add_f64 v[38:39], v[20:21], v[5:6]
	v_add_f64 v[5:6], v[20:21], -v[5:6]
	v_fma_f64 v[42:43], v[50:51], s[4:5], v[52:53]
	v_fma_f64 v[30:31], v[40:41], s[4:5], v[32:33]
	;; [unrolled: 1-line block ×3, first 2 shown]
	v_fma_f64 v[40:41], v[46:47], 0.5, v[48:49]
	v_add3_u32 v46, 0, v3, v7
	v_add_nc_u32_e32 v47, 0x400, v46
	v_add_f64 v[44:45], v[1:2], v[36:37]
	v_add_f64 v[20:21], v[22:23], v[34:35]
	v_add_f64 v[22:23], v[22:23], -v[34:35]
	v_add_f64 v[1:2], v[1:2], -v[36:37]
	v_add_f64 v[34:35], v[16:17], v[18:19]
	v_add_f64 v[16:17], v[16:17], -v[18:19]
	ds_write2_b64 v46, v[38:39], v[20:21] offset1:54
	ds_write2_b64 v46, v[44:45], v[5:6] offset0:108 offset1:162
	ds_write2_b64 v47, v[22:23], v[1:2] offset0:88 offset1:142
	v_add_f64 v[18:19], v[30:31], v[40:41]
	s_waitcnt lgkmcnt(0)
	s_barrier
	buffer_gl0_inv
	ds_read2_b64 v[0:3], v0 offset0:68 offset1:230
	ds_read2_b64 v[4:7], v4 offset0:8 offset1:170
	ds_read_b64 v[8:9], v8
	ds_read_b64 v[10:11], v10
	v_add_f64 v[36:37], v[32:33], v[42:43]
	v_add_f64 v[30:31], v[30:31], -v[40:41]
	v_add_f64 v[32:33], v[32:33], -v[42:43]
	s_waitcnt lgkmcnt(0)
	s_barrier
	buffer_gl0_inv
	ds_write2_b64 v46, v[34:35], v[18:19] offset1:54
	ds_write2_b64 v46, v[36:37], v[16:17] offset0:108 offset1:162
	ds_write2_b64 v47, v[30:31], v[32:33] offset0:88 offset1:142
	s_waitcnt lgkmcnt(0)
	s_barrier
	buffer_gl0_inv
	s_and_saveexec_b32 s8, vcc_lo
	s_cbranch_execz .LBB0_15
; %bb.14:
	v_lshlrev_b32_e32 v20, 1, v29
	v_mov_b32_e32 v21, 0
	v_sub_nc_u32_e32 v15, 0, v15
	v_mul_lo_u32 v48, s7, v26
	v_mul_lo_u32 v49, s6, v27
	v_mul_hi_u32 v45, 0xca4587e7, v28
	v_lshlrev_b64 v[16:17], 4, v[20:21]
	v_lshlrev_b32_e32 v20, 1, v28
	v_add_nc_u32_e32 v47, v14, v15
	v_add_nc_u32_e32 v50, 0xa2, v28
	v_sub_nc_u32_e32 v13, 0, v13
	v_add_co_u32 v18, vcc_lo, s12, v16
	v_add_co_ci_u32_e32 v19, vcc_lo, s13, v17, vcc_lo
	v_lshlrev_b64 v[29:30], 4, v[20:21]
	v_add_co_u32 v16, vcc_lo, 0x1000, v18
	v_add_co_ci_u32_e32 v17, vcc_lo, 0, v19, vcc_lo
	v_add_co_u32 v22, vcc_lo, 0x1410, v18
	v_add_co_ci_u32_e32 v23, vcc_lo, 0, v19, vcc_lo
	global_load_dwordx4 v[16:19], v[16:17], off offset:1040
	v_add_co_u32 v31, vcc_lo, s12, v29
	global_load_dwordx4 v[20:23], v[22:23], off offset:16
	v_add_co_ci_u32_e32 v32, vcc_lo, s13, v30, vcc_lo
	v_add_co_u32 v29, vcc_lo, 0x1000, v31
	v_add_nc_u32_e32 v14, 0x800, v47
	v_add_co_ci_u32_e32 v30, vcc_lo, 0, v32, vcc_lo
	v_add_co_u32 v33, vcc_lo, 0x1410, v31
	v_add_co_ci_u32_e32 v34, vcc_lo, 0, v32, vcc_lo
	s_clause 0x1
	global_load_dwordx4 v[29:32], v[29:30], off offset:1040
	global_load_dwordx4 v[33:36], v[33:34], off offset:16
	v_add_nc_u32_e32 v15, 0x1400, v47
	ds_read2_b64 v[37:40], v14 offset0:68 offset1:230
	ds_read2_b64 v[41:44], v15 offset0:8 offset1:170
	v_mad_u64_u32 v[14:15], null, s6, v26, 0
	v_lshrrev_b32_e32 v52, 8, v45
	v_mul_hi_u32 v51, 0xca4587e7, v50
	v_add3_u32 v15, v15, v49, v48
	v_mul_u32_u24_e32 v49, 0x144, v52
	v_add_nc_u32_e32 v48, v12, v13
	v_lshrrev_b32_e32 v51, 8, v51
	v_lshlrev_b64 v[12:13], 4, v[24:25]
	v_lshlrev_b64 v[14:15], 4, v[14:15]
	v_sub_nc_u32_e32 v28, v28, v49
	ds_read_b64 v[24:25], v48
	ds_read_b64 v[47:48], v47
	v_mul_u32_u24_e32 v49, 0x144, v51
	v_add_co_u32 v52, vcc_lo, s10, v14
	v_add_co_ci_u32_e32 v53, vcc_lo, s11, v15, vcc_lo
	v_add_co_u32 v61, vcc_lo, v52, v12
	v_add_co_ci_u32_e32 v62, vcc_lo, v53, v13, vcc_lo
	s_waitcnt vmcnt(3) lgkmcnt(3)
	v_mul_f64 v[26:27], v[39:40], v[18:19]
	v_mul_f64 v[18:19], v[2:3], v[18:19]
	s_waitcnt vmcnt(2) lgkmcnt(2)
	v_mul_f64 v[45:46], v[43:44], v[22:23]
	v_mul_f64 v[22:23], v[6:7], v[22:23]
	s_waitcnt vmcnt(1)
	v_mul_f64 v[14:15], v[0:1], v[31:32]
	v_mul_f64 v[31:32], v[37:38], v[31:32]
	v_fma_f64 v[2:3], v[2:3], v[16:17], -v[26:27]
	v_fma_f64 v[16:17], v[16:17], v[39:40], v[18:19]
	s_waitcnt vmcnt(0)
	v_mul_f64 v[18:19], v[4:5], v[35:36]
	v_mul_f64 v[26:27], v[41:42], v[35:36]
	v_sub_nc_u32_e32 v35, v50, v49
	v_fma_f64 v[6:7], v[6:7], v[20:21], -v[45:46]
	v_fma_f64 v[20:21], v[20:21], v[43:44], v[22:23]
	v_add_nc_u32_e32 v40, 0x288, v28
	v_add_nc_u32_e32 v39, 0x144, v28
	v_mad_u32_u24 v43, 0x3cc, v51, v35
	v_mad_u64_u32 v[22:23], null, s2, v28, 0
	v_mad_u64_u32 v[35:36], null, s2, v40, 0
	;; [unrolled: 1-line block ×3, first 2 shown]
	v_fma_f64 v[14:15], v[29:30], v[37:38], v[14:15]
	v_fma_f64 v[0:1], v[0:1], v[29:30], -v[31:32]
	v_mad_u64_u32 v[37:38], null, s2, v43, 0
	v_add_nc_u32_e32 v45, 0x144, v43
	v_add_nc_u32_e32 v46, 0x288, v43
	s_waitcnt lgkmcnt(1)
	v_add_f64 v[49:50], v[16:17], v[24:25]
	v_fma_f64 v[18:19], v[33:34], v[41:42], v[18:19]
	v_fma_f64 v[4:5], v[4:5], v[33:34], -v[26:27]
	v_mad_u64_u32 v[26:27], null, s3, v28, v[23:24]
	v_mov_b32_e32 v23, v36
	v_mad_u64_u32 v[27:28], null, s2, v45, 0
	v_mad_u64_u32 v[29:30], null, s2, v46, 0
	v_add_f64 v[51:52], v[16:17], -v[20:21]
	v_mad_u64_u32 v[31:32], null, s3, v39, v[13:14]
	v_mov_b32_e32 v13, v38
	v_mad_u64_u32 v[32:33], null, s3, v40, v[23:24]
	v_add_f64 v[33:34], v[16:17], v[20:21]
	v_mov_b32_e32 v23, v26
	v_mad_u64_u32 v[38:39], null, s3, v43, v[13:14]
	v_add_f64 v[41:42], v[14:15], v[18:19]
	v_add_f64 v[43:44], v[0:1], v[4:5]
	;; [unrolled: 1-line block ×3, first 2 shown]
	v_mov_b32_e32 v26, v28
	v_mov_b32_e32 v28, v30
	;; [unrolled: 1-line block ×4, first 2 shown]
	v_add_f64 v[16:17], v[10:11], v[2:3]
	v_mad_u64_u32 v[30:31], null, s3, v45, v[26:27]
	v_mad_u64_u32 v[31:32], null, s3, v46, v[28:29]
	s_waitcnt lgkmcnt(0)
	v_add_f64 v[53:54], v[14:15], v[47:48]
	v_add_f64 v[55:56], v[8:9], v[0:1]
	v_add_f64 v[45:46], v[2:3], -v[6:7]
	v_lshlrev_b64 v[22:23], 4, v[22:23]
	v_lshlrev_b64 v[12:13], 4, v[12:13]
	v_add_f64 v[2:3], v[20:21], v[49:50]
	v_fma_f64 v[24:25], v[33:34], -0.5, v[24:25]
	v_add_f64 v[32:33], v[0:1], -v[4:5]
	v_lshlrev_b64 v[35:36], 4, v[35:36]
	v_add_co_u32 v57, vcc_lo, v61, v22
	v_fma_f64 v[41:42], v[41:42], -0.5, v[47:48]
	v_add_f64 v[47:48], v[14:15], -v[18:19]
	v_fma_f64 v[43:44], v[43:44], -0.5, v[8:9]
	v_fma_f64 v[39:40], v[39:40], -0.5, v[10:11]
	v_add_co_ci_u32_e32 v58, vcc_lo, v62, v23, vcc_lo
	v_add_f64 v[0:1], v[16:17], v[6:7]
	v_add_co_u32 v59, vcc_lo, v61, v12
	v_add_co_ci_u32_e32 v60, vcc_lo, v62, v13, vcc_lo
	v_add_f64 v[6:7], v[53:54], v[18:19]
	v_add_f64 v[4:5], v[55:56], v[4:5]
	v_mov_b32_e32 v28, v30
	v_lshlrev_b64 v[37:38], 4, v[37:38]
	v_mov_b32_e32 v30, v31
	v_fma_f64 v[14:15], v[45:46], s[4:5], v[24:25]
	v_fma_f64 v[10:11], v[45:46], s[0:1], v[24:25]
	v_add_co_u32 v24, vcc_lo, v61, v35
	v_lshlrev_b64 v[26:27], 4, v[27:28]
	v_fma_f64 v[22:23], v[32:33], s[4:5], v[41:42]
	v_fma_f64 v[18:19], v[32:33], s[0:1], v[41:42]
	;; [unrolled: 1-line block ×6, first 2 shown]
	v_add_co_ci_u32_e32 v25, vcc_lo, v62, v36, vcc_lo
	v_lshlrev_b64 v[28:29], 4, v[29:30]
	v_add_co_u32 v30, vcc_lo, v61, v37
	v_add_co_ci_u32_e32 v31, vcc_lo, v62, v38, vcc_lo
	v_add_co_u32 v26, vcc_lo, v61, v26
	v_add_co_ci_u32_e32 v27, vcc_lo, v62, v27, vcc_lo
	;; [unrolled: 2-line block ×3, first 2 shown]
	global_store_dwordx4 v[57:58], v[4:7], off
	global_store_dwordx4 v[59:60], v[20:23], off
	;; [unrolled: 1-line block ×6, first 2 shown]
.LBB0_15:
	s_endpgm
	.section	.rodata,"a",@progbits
	.p2align	6, 0x0
	.amdhsa_kernel fft_rtc_fwd_len972_factors_3_6_3_6_3_wgs_162_tpt_162_halfLds_dp_op_CI_CI_sbrr_dirReg
		.amdhsa_group_segment_fixed_size 0
		.amdhsa_private_segment_fixed_size 0
		.amdhsa_kernarg_size 104
		.amdhsa_user_sgpr_count 6
		.amdhsa_user_sgpr_private_segment_buffer 1
		.amdhsa_user_sgpr_dispatch_ptr 0
		.amdhsa_user_sgpr_queue_ptr 0
		.amdhsa_user_sgpr_kernarg_segment_ptr 1
		.amdhsa_user_sgpr_dispatch_id 0
		.amdhsa_user_sgpr_flat_scratch_init 0
		.amdhsa_user_sgpr_private_segment_size 0
		.amdhsa_wavefront_size32 1
		.amdhsa_uses_dynamic_stack 0
		.amdhsa_system_sgpr_private_segment_wavefront_offset 0
		.amdhsa_system_sgpr_workgroup_id_x 1
		.amdhsa_system_sgpr_workgroup_id_y 0
		.amdhsa_system_sgpr_workgroup_id_z 0
		.amdhsa_system_sgpr_workgroup_info 0
		.amdhsa_system_vgpr_workitem_id 0
		.amdhsa_next_free_vgpr 66
		.amdhsa_next_free_sgpr 31
		.amdhsa_reserve_vcc 1
		.amdhsa_reserve_flat_scratch 0
		.amdhsa_float_round_mode_32 0
		.amdhsa_float_round_mode_16_64 0
		.amdhsa_float_denorm_mode_32 3
		.amdhsa_float_denorm_mode_16_64 3
		.amdhsa_dx10_clamp 1
		.amdhsa_ieee_mode 1
		.amdhsa_fp16_overflow 0
		.amdhsa_workgroup_processor_mode 1
		.amdhsa_memory_ordered 1
		.amdhsa_forward_progress 0
		.amdhsa_shared_vgpr_count 0
		.amdhsa_exception_fp_ieee_invalid_op 0
		.amdhsa_exception_fp_denorm_src 0
		.amdhsa_exception_fp_ieee_div_zero 0
		.amdhsa_exception_fp_ieee_overflow 0
		.amdhsa_exception_fp_ieee_underflow 0
		.amdhsa_exception_fp_ieee_inexact 0
		.amdhsa_exception_int_div_zero 0
	.end_amdhsa_kernel
	.text
.Lfunc_end0:
	.size	fft_rtc_fwd_len972_factors_3_6_3_6_3_wgs_162_tpt_162_halfLds_dp_op_CI_CI_sbrr_dirReg, .Lfunc_end0-fft_rtc_fwd_len972_factors_3_6_3_6_3_wgs_162_tpt_162_halfLds_dp_op_CI_CI_sbrr_dirReg
                                        ; -- End function
	.section	.AMDGPU.csdata,"",@progbits
; Kernel info:
; codeLenInByte = 5712
; NumSgprs: 33
; NumVgprs: 66
; ScratchSize: 0
; MemoryBound: 1
; FloatMode: 240
; IeeeMode: 1
; LDSByteSize: 0 bytes/workgroup (compile time only)
; SGPRBlocks: 4
; VGPRBlocks: 8
; NumSGPRsForWavesPerEU: 33
; NumVGPRsForWavesPerEU: 66
; Occupancy: 12
; WaveLimiterHint : 1
; COMPUTE_PGM_RSRC2:SCRATCH_EN: 0
; COMPUTE_PGM_RSRC2:USER_SGPR: 6
; COMPUTE_PGM_RSRC2:TRAP_HANDLER: 0
; COMPUTE_PGM_RSRC2:TGID_X_EN: 1
; COMPUTE_PGM_RSRC2:TGID_Y_EN: 0
; COMPUTE_PGM_RSRC2:TGID_Z_EN: 0
; COMPUTE_PGM_RSRC2:TIDIG_COMP_CNT: 0
	.text
	.p2alignl 6, 3214868480
	.fill 48, 4, 3214868480
	.type	__hip_cuid_b2477a0828e850bb,@object ; @__hip_cuid_b2477a0828e850bb
	.section	.bss,"aw",@nobits
	.globl	__hip_cuid_b2477a0828e850bb
__hip_cuid_b2477a0828e850bb:
	.byte	0                               ; 0x0
	.size	__hip_cuid_b2477a0828e850bb, 1

	.ident	"AMD clang version 19.0.0git (https://github.com/RadeonOpenCompute/llvm-project roc-6.4.0 25133 c7fe45cf4b819c5991fe208aaa96edf142730f1d)"
	.section	".note.GNU-stack","",@progbits
	.addrsig
	.addrsig_sym __hip_cuid_b2477a0828e850bb
	.amdgpu_metadata
---
amdhsa.kernels:
  - .args:
      - .actual_access:  read_only
        .address_space:  global
        .offset:         0
        .size:           8
        .value_kind:     global_buffer
      - .offset:         8
        .size:           8
        .value_kind:     by_value
      - .actual_access:  read_only
        .address_space:  global
        .offset:         16
        .size:           8
        .value_kind:     global_buffer
      - .actual_access:  read_only
        .address_space:  global
        .offset:         24
        .size:           8
        .value_kind:     global_buffer
      - .actual_access:  read_only
        .address_space:  global
        .offset:         32
        .size:           8
        .value_kind:     global_buffer
      - .offset:         40
        .size:           8
        .value_kind:     by_value
      - .actual_access:  read_only
        .address_space:  global
        .offset:         48
        .size:           8
        .value_kind:     global_buffer
      - .actual_access:  read_only
        .address_space:  global
        .offset:         56
        .size:           8
        .value_kind:     global_buffer
      - .offset:         64
        .size:           4
        .value_kind:     by_value
      - .actual_access:  read_only
        .address_space:  global
        .offset:         72
        .size:           8
        .value_kind:     global_buffer
      - .actual_access:  read_only
        .address_space:  global
        .offset:         80
        .size:           8
        .value_kind:     global_buffer
      - .actual_access:  read_only
        .address_space:  global
        .offset:         88
        .size:           8
        .value_kind:     global_buffer
      - .actual_access:  write_only
        .address_space:  global
        .offset:         96
        .size:           8
        .value_kind:     global_buffer
    .group_segment_fixed_size: 0
    .kernarg_segment_align: 8
    .kernarg_segment_size: 104
    .language:       OpenCL C
    .language_version:
      - 2
      - 0
    .max_flat_workgroup_size: 162
    .name:           fft_rtc_fwd_len972_factors_3_6_3_6_3_wgs_162_tpt_162_halfLds_dp_op_CI_CI_sbrr_dirReg
    .private_segment_fixed_size: 0
    .sgpr_count:     33
    .sgpr_spill_count: 0
    .symbol:         fft_rtc_fwd_len972_factors_3_6_3_6_3_wgs_162_tpt_162_halfLds_dp_op_CI_CI_sbrr_dirReg.kd
    .uniform_work_group_size: 1
    .uses_dynamic_stack: false
    .vgpr_count:     66
    .vgpr_spill_count: 0
    .wavefront_size: 32
    .workgroup_processor_mode: 1
amdhsa.target:   amdgcn-amd-amdhsa--gfx1030
amdhsa.version:
  - 1
  - 2
...

	.end_amdgpu_metadata
